;; amdgpu-corpus repo=ROCm/rocFFT kind=compiled arch=gfx906 opt=O3
	.text
	.amdgcn_target "amdgcn-amd-amdhsa--gfx906"
	.amdhsa_code_object_version 6
	.protected	fft_rtc_back_len208_factors_13_16_wgs_144_tpt_16_sp_ip_CI_sbcc ; -- Begin function fft_rtc_back_len208_factors_13_16_wgs_144_tpt_16_sp_ip_CI_sbcc
	.globl	fft_rtc_back_len208_factors_13_16_wgs_144_tpt_16_sp_ip_CI_sbcc
	.p2align	8
	.type	fft_rtc_back_len208_factors_13_16_wgs_144_tpt_16_sp_ip_CI_sbcc,@function
fft_rtc_back_len208_factors_13_16_wgs_144_tpt_16_sp_ip_CI_sbcc: ; @fft_rtc_back_len208_factors_13_16_wgs_144_tpt_16_sp_ip_CI_sbcc
; %bb.0:
	s_load_dwordx4 s[0:3], s[4:5], 0x18
	s_mov_b32 s7, 0
	s_mov_b64 s[22:23], 0
	s_waitcnt lgkmcnt(0)
	s_load_dwordx2 s[16:17], s[0:1], 0x8
	s_waitcnt lgkmcnt(0)
	s_add_u32 s8, s16, -1
	s_addc_u32 s9, s17, -1
	s_add_u32 s10, 0, 0x71c4fc00
	s_addc_u32 s11, 0, 0x7c
	s_mul_hi_u32 s13, s10, -9
	s_add_i32 s11, s11, 0x1c71c6a0
	s_sub_i32 s13, s13, s10
	s_mul_i32 s18, s11, -9
	s_mul_i32 s12, s10, -9
	s_add_i32 s13, s13, s18
	s_mul_hi_u32 s14, s11, s12
	s_mul_i32 s15, s11, s12
	s_mul_i32 s19, s10, s13
	s_mul_hi_u32 s12, s10, s12
	s_mul_hi_u32 s18, s10, s13
	s_add_u32 s12, s12, s19
	s_addc_u32 s18, 0, s18
	s_add_u32 s12, s12, s15
	s_mul_hi_u32 s19, s11, s13
	s_addc_u32 s12, s18, s14
	s_addc_u32 s14, s19, 0
	s_mul_i32 s13, s11, s13
	s_add_u32 s12, s12, s13
	v_mov_b32_e32 v1, s12
	s_addc_u32 s13, 0, s14
	v_add_co_u32_e32 v1, vcc, s10, v1
	s_cmp_lg_u64 vcc, 0
	s_addc_u32 s10, s11, s13
	v_readfirstlane_b32 s13, v1
	s_mul_i32 s12, s8, s10
	s_mul_hi_u32 s14, s8, s13
	s_mul_hi_u32 s11, s8, s10
	s_add_u32 s12, s14, s12
	s_addc_u32 s11, 0, s11
	s_mul_hi_u32 s15, s9, s13
	s_mul_i32 s13, s9, s13
	s_add_u32 s12, s12, s13
	s_mul_hi_u32 s14, s9, s10
	s_addc_u32 s11, s11, s15
	s_addc_u32 s12, s14, 0
	s_mul_i32 s10, s9, s10
	s_add_u32 s10, s11, s10
	s_addc_u32 s11, 0, s12
	s_add_u32 s12, s10, 1
	s_addc_u32 s13, s11, 0
	s_add_u32 s14, s10, 2
	s_mul_i32 s18, s11, 9
	s_mul_hi_u32 s19, s10, 9
	s_addc_u32 s15, s11, 0
	s_add_i32 s19, s19, s18
	s_mul_i32 s18, s10, 9
	v_mov_b32_e32 v1, s18
	v_sub_co_u32_e32 v1, vcc, s8, v1
	s_cmp_lg_u64 vcc, 0
	s_subb_u32 s8, s9, s19
	v_subrev_co_u32_e32 v2, vcc, 9, v1
	s_cmp_lg_u64 vcc, 0
	s_subb_u32 s9, s8, 0
	v_readfirstlane_b32 s18, v2
	s_cmp_gt_u32 s18, 8
	s_cselect_b32 s18, -1, 0
	s_cmp_eq_u32 s9, 0
	s_cselect_b32 s9, s18, -1
	s_cmp_lg_u32 s9, 0
	s_cselect_b32 s9, s14, s12
	s_cselect_b32 s12, s15, s13
	v_readfirstlane_b32 s13, v1
	s_cmp_gt_u32 s13, 8
	s_cselect_b32 s13, -1, 0
	s_cmp_eq_u32 s8, 0
	s_cselect_b32 s8, s13, -1
	s_cmp_lg_u32 s8, 0
	s_cselect_b32 s9, s9, s10
	s_cselect_b32 s8, s12, s11
	s_add_u32 s18, s9, 1
	s_addc_u32 s19, s8, 0
	v_mov_b32_e32 v1, s18
	v_mov_b32_e32 v2, s19
	v_cmp_lt_u64_e32 vcc, s[6:7], v[1:2]
	s_cbranch_vccnz .LBB0_2
; %bb.1:
	v_cvt_f32_u32_e32 v1, s18
	s_sub_i32 s8, 0, s18
	s_mov_b32 s23, s7
	v_rcp_iflag_f32_e32 v1, v1
	v_mul_f32_e32 v1, 0x4f7ffffe, v1
	v_cvt_u32_f32_e32 v1, v1
	v_readfirstlane_b32 s9, v1
	s_mul_i32 s8, s8, s9
	s_mul_hi_u32 s8, s9, s8
	s_add_i32 s9, s9, s8
	s_mul_hi_u32 s8, s6, s9
	s_mul_i32 s10, s8, s18
	s_sub_i32 s10, s6, s10
	s_add_i32 s9, s8, 1
	s_sub_i32 s11, s10, s18
	s_cmp_ge_u32 s10, s18
	s_cselect_b32 s8, s9, s8
	s_cselect_b32 s10, s11, s10
	s_add_i32 s9, s8, 1
	s_cmp_ge_u32 s10, s18
	s_cselect_b32 s22, s9, s8
.LBB0_2:
	s_load_dwordx2 s[14:15], s[4:5], 0x0
	s_load_dwordx4 s[8:11], s[2:3], 0x0
	s_load_dwordx2 s[12:13], s[4:5], 0x58
	s_load_dwordx2 s[20:21], s[4:5], 0x10
	s_mul_i32 s4, s22, s19
	s_mul_hi_u32 s5, s22, s18
	s_add_i32 s5, s5, s4
	s_mul_i32 s4, s22, s18
	s_sub_u32 s36, s6, s4
	s_subb_u32 s4, 0, s5
	s_mul_i32 s4, s4, 9
	s_mul_hi_u32 s33, s36, 9
	s_add_i32 s33, s33, s4
	s_mul_i32 s36, s36, 9
	s_waitcnt lgkmcnt(0)
	s_mul_i32 s4, s10, s33
	s_mul_hi_u32 s5, s10, s36
	s_add_i32 s4, s5, s4
	s_mul_i32 s5, s11, s36
	s_add_i32 s37, s4, s5
	v_cmp_lt_u64_e64 s[4:5], s[20:21], 3
	s_mul_i32 s38, s10, s36
	s_and_b64 vcc, exec, s[4:5]
	s_cbranch_vccnz .LBB0_12
; %bb.3:
	s_add_u32 s4, s2, 16
	s_addc_u32 s5, s3, 0
	s_add_u32 s24, s0, 16
	v_mov_b32_e32 v1, s20
	s_addc_u32 s25, s1, 0
	s_mov_b64 s[26:27], 2
	s_mov_b32 s28, 0
	v_mov_b32_e32 v2, s21
.LBB0_4:                                ; =>This Inner Loop Header: Depth=1
	s_load_dwordx2 s[30:31], s[24:25], 0x0
	s_waitcnt lgkmcnt(0)
	s_or_b64 s[0:1], s[22:23], s[30:31]
	s_mov_b32 s29, s1
	s_cmp_lg_u64 s[28:29], 0
	s_cbranch_scc0 .LBB0_9
; %bb.5:                                ;   in Loop: Header=BB0_4 Depth=1
	v_cvt_f32_u32_e32 v3, s30
	v_cvt_f32_u32_e32 v4, s31
	s_sub_u32 s0, 0, s30
	s_subb_u32 s1, 0, s31
	v_mac_f32_e32 v3, 0x4f800000, v4
	v_rcp_f32_e32 v3, v3
	v_mul_f32_e32 v3, 0x5f7ffffc, v3
	v_mul_f32_e32 v4, 0x2f800000, v3
	v_trunc_f32_e32 v4, v4
	v_mac_f32_e32 v3, 0xcf800000, v4
	v_cvt_u32_f32_e32 v4, v4
	v_cvt_u32_f32_e32 v3, v3
	v_readfirstlane_b32 s29, v4
	v_readfirstlane_b32 s34, v3
	s_mul_i32 s35, s0, s29
	s_mul_hi_u32 s40, s0, s34
	s_mul_i32 s39, s1, s34
	s_add_i32 s35, s40, s35
	s_mul_i32 s41, s0, s34
	s_add_i32 s35, s35, s39
	s_mul_hi_u32 s39, s34, s35
	s_mul_i32 s40, s34, s35
	s_mul_hi_u32 s34, s34, s41
	s_add_u32 s34, s34, s40
	s_addc_u32 s39, 0, s39
	s_mul_hi_u32 s42, s29, s41
	s_mul_i32 s41, s29, s41
	s_add_u32 s34, s34, s41
	s_mul_hi_u32 s40, s29, s35
	s_addc_u32 s34, s39, s42
	s_addc_u32 s39, s40, 0
	s_mul_i32 s35, s29, s35
	s_add_u32 s34, s34, s35
	s_addc_u32 s35, 0, s39
	v_add_co_u32_e32 v3, vcc, s34, v3
	s_cmp_lg_u64 vcc, 0
	s_addc_u32 s29, s29, s35
	v_readfirstlane_b32 s35, v3
	s_mul_i32 s34, s0, s29
	s_mul_hi_u32 s39, s0, s35
	s_add_i32 s34, s39, s34
	s_mul_i32 s1, s1, s35
	s_add_i32 s34, s34, s1
	s_mul_i32 s0, s0, s35
	s_mul_hi_u32 s39, s29, s0
	s_mul_i32 s40, s29, s0
	s_mul_i32 s42, s35, s34
	s_mul_hi_u32 s0, s35, s0
	s_mul_hi_u32 s41, s35, s34
	s_add_u32 s0, s0, s42
	s_addc_u32 s35, 0, s41
	s_add_u32 s0, s0, s40
	s_mul_hi_u32 s1, s29, s34
	s_addc_u32 s0, s35, s39
	s_addc_u32 s1, s1, 0
	s_mul_i32 s34, s29, s34
	s_add_u32 s0, s0, s34
	s_addc_u32 s1, 0, s1
	v_add_co_u32_e32 v3, vcc, s0, v3
	s_cmp_lg_u64 vcc, 0
	s_addc_u32 s0, s29, s1
	v_readfirstlane_b32 s34, v3
	s_mul_i32 s29, s22, s0
	s_mul_hi_u32 s35, s22, s34
	s_mul_hi_u32 s1, s22, s0
	s_add_u32 s29, s35, s29
	s_addc_u32 s1, 0, s1
	s_mul_hi_u32 s39, s23, s34
	s_mul_i32 s34, s23, s34
	s_add_u32 s29, s29, s34
	s_mul_hi_u32 s35, s23, s0
	s_addc_u32 s1, s1, s39
	s_addc_u32 s29, s35, 0
	s_mul_i32 s0, s23, s0
	s_add_u32 s34, s1, s0
	s_addc_u32 s29, 0, s29
	s_mul_i32 s0, s30, s29
	s_mul_hi_u32 s1, s30, s34
	s_add_i32 s0, s1, s0
	s_mul_i32 s1, s31, s34
	s_add_i32 s35, s0, s1
	s_mul_i32 s1, s30, s34
	v_mov_b32_e32 v3, s1
	s_sub_i32 s0, s23, s35
	v_sub_co_u32_e32 v3, vcc, s22, v3
	s_cmp_lg_u64 vcc, 0
	s_subb_u32 s39, s0, s31
	v_subrev_co_u32_e64 v4, s[0:1], s30, v3
	s_cmp_lg_u64 s[0:1], 0
	s_subb_u32 s0, s39, 0
	s_cmp_ge_u32 s0, s31
	v_readfirstlane_b32 s39, v4
	s_cselect_b32 s1, -1, 0
	s_cmp_ge_u32 s39, s30
	s_cselect_b32 s39, -1, 0
	s_cmp_eq_u32 s0, s31
	s_cselect_b32 s0, s39, s1
	s_add_u32 s1, s34, 1
	s_addc_u32 s39, s29, 0
	s_add_u32 s40, s34, 2
	s_addc_u32 s41, s29, 0
	s_cmp_lg_u32 s0, 0
	s_cselect_b32 s0, s40, s1
	s_cselect_b32 s1, s41, s39
	s_cmp_lg_u64 vcc, 0
	s_subb_u32 s35, s23, s35
	s_cmp_ge_u32 s35, s31
	v_readfirstlane_b32 s40, v3
	s_cselect_b32 s39, -1, 0
	s_cmp_ge_u32 s40, s30
	s_cselect_b32 s40, -1, 0
	s_cmp_eq_u32 s35, s31
	s_cselect_b32 s35, s40, s39
	s_cmp_lg_u32 s35, 0
	s_cselect_b32 s1, s1, s29
	s_cselect_b32 s0, s0, s34
	s_cbranch_execnz .LBB0_7
.LBB0_6:                                ;   in Loop: Header=BB0_4 Depth=1
	v_cvt_f32_u32_e32 v3, s30
	s_sub_i32 s0, 0, s30
	v_rcp_iflag_f32_e32 v3, v3
	v_mul_f32_e32 v3, 0x4f7ffffe, v3
	v_cvt_u32_f32_e32 v3, v3
	v_readfirstlane_b32 s1, v3
	s_mul_i32 s0, s0, s1
	s_mul_hi_u32 s0, s1, s0
	s_add_i32 s1, s1, s0
	s_mul_hi_u32 s0, s22, s1
	s_mul_i32 s29, s0, s30
	s_sub_i32 s29, s22, s29
	s_add_i32 s1, s0, 1
	s_sub_i32 s34, s29, s30
	s_cmp_ge_u32 s29, s30
	s_cselect_b32 s0, s1, s0
	s_cselect_b32 s29, s34, s29
	s_add_i32 s1, s0, 1
	s_cmp_ge_u32 s29, s30
	s_cselect_b32 s0, s1, s0
	s_mov_b32 s1, s28
.LBB0_7:                                ;   in Loop: Header=BB0_4 Depth=1
	s_mul_i32 s19, s30, s19
	s_mul_hi_u32 s29, s30, s18
	s_add_i32 s19, s29, s19
	s_mul_i32 s29, s31, s18
	s_add_i32 s19, s19, s29
	s_mul_i32 s29, s0, s31
	s_mul_hi_u32 s31, s0, s30
	s_load_dwordx2 s[34:35], s[4:5], 0x0
	s_add_i32 s29, s31, s29
	s_mul_i32 s31, s1, s30
	s_mul_i32 s18, s30, s18
	s_add_i32 s29, s29, s31
	s_mul_i32 s30, s0, s30
	s_sub_u32 s22, s22, s30
	s_subb_u32 s23, s23, s29
	s_waitcnt lgkmcnt(0)
	s_mul_i32 s23, s34, s23
	s_mul_hi_u32 s29, s34, s22
	s_add_i32 s23, s29, s23
	s_mul_i32 s29, s35, s22
	s_add_i32 s23, s23, s29
	s_mul_i32 s22, s34, s22
	s_add_u32 s38, s22, s38
	s_addc_u32 s37, s23, s37
	s_add_u32 s26, s26, 1
	s_addc_u32 s27, s27, 0
	;; [unrolled: 2-line block ×3, first 2 shown]
	v_cmp_ge_u64_e32 vcc, s[26:27], v[1:2]
	s_add_u32 s24, s24, 8
	s_addc_u32 s25, s25, 0
	s_cbranch_vccnz .LBB0_10
; %bb.8:                                ;   in Loop: Header=BB0_4 Depth=1
	s_mov_b64 s[22:23], s[0:1]
	s_branch .LBB0_4
.LBB0_9:                                ;   in Loop: Header=BB0_4 Depth=1
                                        ; implicit-def: $sgpr0_sgpr1
	s_branch .LBB0_6
.LBB0_10:
	v_mov_b32_e32 v1, s18
	v_mov_b32_e32 v2, s19
	v_cmp_lt_u64_e32 vcc, s[6:7], v[1:2]
	s_mov_b64 s[22:23], 0
	s_cbranch_vccnz .LBB0_12
; %bb.11:
	v_cvt_f32_u32_e32 v1, s18
	s_sub_i32 s0, 0, s18
	v_rcp_iflag_f32_e32 v1, v1
	v_mul_f32_e32 v1, 0x4f7ffffe, v1
	v_cvt_u32_f32_e32 v1, v1
	v_readfirstlane_b32 s1, v1
	s_mul_i32 s0, s0, s1
	s_mul_hi_u32 s0, s1, s0
	s_add_i32 s1, s1, s0
	s_mul_hi_u32 s0, s6, s1
	s_mul_i32 s4, s0, s18
	s_sub_i32 s4, s6, s4
	s_add_i32 s1, s0, 1
	s_sub_i32 s5, s4, s18
	s_cmp_ge_u32 s4, s18
	s_cselect_b32 s0, s1, s0
	s_cselect_b32 s4, s5, s4
	s_add_i32 s1, s0, 1
	s_cmp_ge_u32 s4, s18
	s_cselect_b32 s22, s1, s0
.LBB0_12:
	s_lshl_b64 s[0:1], s[20:21], 3
	s_add_u32 s0, s2, s0
	s_addc_u32 s1, s3, s1
	s_load_dwordx2 s[0:1], s[0:1], 0x0
	v_mov_b32_e32 v1, s16
	v_mul_u32_u24_e32 v3, 0x1c72, v0
	v_mov_b32_e32 v2, s17
	v_lshrrev_b32_e32 v32, 16, v3
	s_waitcnt lgkmcnt(0)
	s_mul_i32 s1, s1, s22
	s_mul_hi_u32 s2, s0, s22
	s_mul_i32 s0, s0, s22
	s_add_i32 s1, s2, s1
	s_add_u32 s2, s0, s38
	s_addc_u32 s3, s1, s37
	s_add_u32 s0, s36, 9
	s_addc_u32 s1, s33, 0
	v_cmp_le_u64_e32 vcc, s[0:1], v[1:2]
	v_mul_lo_u16_e32 v1, 9, v32
	v_sub_u16_e32 v37, v0, v1
	v_mov_b32_e32 v2, s33
	v_add_co_u32_e64 v1, s[0:1], s36, v37
	v_addc_co_u32_e64 v2, s[0:1], 0, v2, s[0:1]
	v_cmp_gt_u64_e64 s[0:1], s[16:17], v[1:2]
	v_lshlrev_b32_e32 v38, 3, v32
	s_or_b64 s[0:1], vcc, s[0:1]
	v_add_u32_e32 v36, 16, v32
	v_or_b32_e32 v35, 32, v32
	v_add_u32_e32 v34, 48, v32
	v_or_b32_e32 v33, 64, v32
	s_and_saveexec_b64 s[4:5], s[0:1]
	s_cbranch_execz .LBB0_14
; %bb.13:
	v_mad_u64_u32 v[1:2], s[6:7], s10, v37, 0
	v_mad_u64_u32 v[3:4], s[6:7], s8, v32, 0
	;; [unrolled: 1-line block ×3, first 2 shown]
	v_mov_b32_e32 v2, v4
	v_mad_u64_u32 v[6:7], s[6:7], s9, v32, v[2:3]
	s_lshl_b64 s[6:7], s[2:3], 3
	s_add_u32 s16, s12, s6
	s_addc_u32 s6, s13, s7
	v_mov_b32_e32 v2, v5
	v_mov_b32_e32 v4, v6
	;; [unrolled: 1-line block ×3, first 2 shown]
	v_mad_u64_u32 v[5:6], s[6:7], s8, v36, 0
	v_lshlrev_b64 v[1:2], 3, v[1:2]
	v_mad_u64_u32 v[9:10], s[6:7], s8, v34, 0
	v_add_co_u32_e32 v31, vcc, s16, v1
	v_addc_co_u32_e32 v45, vcc, v7, v2, vcc
	v_lshlrev_b64 v[1:2], 3, v[3:4]
	v_mov_b32_e32 v3, v6
	v_mad_u64_u32 v[3:4], s[6:7], s9, v36, v[3:4]
	v_mad_u64_u32 v[7:8], s[6:7], s8, v35, 0
	v_mov_b32_e32 v6, v3
	v_lshlrev_b64 v[3:4], 3, v[5:6]
	v_mov_b32_e32 v5, v8
	v_mad_u64_u32 v[5:6], s[6:7], s9, v35, v[5:6]
	v_add_co_u32_e32 v1, vcc, v31, v1
	v_mov_b32_e32 v8, v5
	v_lshlrev_b64 v[5:6], 3, v[7:8]
	v_mov_b32_e32 v7, v10
	v_mad_u64_u32 v[7:8], s[6:7], s9, v34, v[7:8]
	v_addc_co_u32_e32 v2, vcc, v45, v2, vcc
	v_add_co_u32_e32 v3, vcc, v31, v3
	v_mov_b32_e32 v10, v7
	v_addc_co_u32_e32 v4, vcc, v45, v4, vcc
	v_lshlrev_b64 v[7:8], 3, v[9:10]
	v_mad_u64_u32 v[9:10], s[6:7], s8, v33, 0
	v_add_co_u32_e32 v5, vcc, v31, v5
	v_addc_co_u32_e32 v6, vcc, v45, v6, vcc
	v_add_co_u32_e32 v7, vcc, v31, v7
	v_addc_co_u32_e32 v8, vcc, v45, v8, vcc
	global_load_dwordx2 v[11:12], v[1:2], off
	global_load_dwordx2 v[13:14], v[3:4], off
	;; [unrolled: 1-line block ×4, first 2 shown]
	v_mov_b32_e32 v1, v10
	v_add_u32_e32 v6, 0x50, v32
	v_mad_u64_u32 v[1:2], s[6:7], s9, v33, v[1:2]
	v_mad_u64_u32 v[2:3], s[6:7], s8, v6, 0
	v_or_b32_e32 v8, 0x60, v32
	v_mad_u64_u32 v[4:5], s[6:7], s8, v8, 0
	v_mov_b32_e32 v10, v1
	v_mov_b32_e32 v1, v3
	v_mad_u64_u32 v[6:7], s[6:7], s9, v6, v[1:2]
	v_mov_b32_e32 v1, v5
	v_mad_u64_u32 v[7:8], s[6:7], s9, v8, v[1:2]
	v_mov_b32_e32 v3, v6
	v_add_u32_e32 v6, 0x70, v32
	v_mad_u64_u32 v[19:20], s[6:7], s8, v6, 0
	v_mov_b32_e32 v5, v7
	v_lshlrev_b64 v[1:2], 3, v[2:3]
	v_lshlrev_b64 v[3:4], 3, v[4:5]
	v_mov_b32_e32 v5, v20
	v_mad_u64_u32 v[5:6], s[6:7], s9, v6, v[5:6]
	v_lshlrev_b64 v[8:9], 3, v[9:10]
	v_or_b32_e32 v10, 0x80, v32
	v_mov_b32_e32 v20, v5
	v_lshlrev_b64 v[5:6], 3, v[19:20]
	v_mad_u64_u32 v[19:20], s[6:7], s8, v10, 0
	v_add_co_u32_e32 v8, vcc, v31, v8
	v_addc_co_u32_e32 v9, vcc, v45, v9, vcc
	v_mov_b32_e32 v7, v20
	v_add_co_u32_e32 v1, vcc, v31, v1
	v_mad_u64_u32 v[20:21], s[6:7], s9, v10, v[7:8]
	v_add_u32_e32 v7, 0x90, v32
	v_addc_co_u32_e32 v2, vcc, v45, v2, vcc
	v_mad_u64_u32 v[21:22], s[6:7], s8, v7, 0
	v_add_co_u32_e32 v3, vcc, v31, v3
	v_addc_co_u32_e32 v4, vcc, v45, v4, vcc
	v_add_co_u32_e32 v5, vcc, v31, v5
	v_addc_co_u32_e32 v6, vcc, v45, v6, vcc
	global_load_dwordx2 v[23:24], v[8:9], off
	global_load_dwordx2 v[25:26], v[1:2], off
	;; [unrolled: 1-line block ×4, first 2 shown]
	v_mov_b32_e32 v3, v22
	v_mad_u64_u32 v[3:4], s[6:7], s9, v7, v[3:4]
	v_or_b32_e32 v8, 0xa0, v32
	v_mad_u64_u32 v[4:5], s[6:7], s8, v8, 0
	v_mov_b32_e32 v22, v3
	v_lshlrev_b64 v[1:2], 3, v[19:20]
	v_mov_b32_e32 v3, v5
	v_mad_u64_u32 v[8:9], s[6:7], s9, v8, v[3:4]
	v_add_u32_e32 v19, 0xb0, v32
	v_mad_u64_u32 v[9:10], s[6:7], s8, v19, 0
	v_add_co_u32_e32 v1, vcc, v31, v1
	v_lshlrev_b64 v[6:7], 3, v[21:22]
	v_addc_co_u32_e32 v2, vcc, v45, v2, vcc
	v_mov_b32_e32 v5, v8
	v_add_co_u32_e32 v6, vcc, v31, v6
	v_lshlrev_b64 v[3:4], 3, v[4:5]
	v_mov_b32_e32 v5, v10
	v_mad_u64_u32 v[19:20], s[6:7], s9, v19, v[5:6]
	v_or_b32_e32 v22, 0xc0, v32
	v_mad_u64_u32 v[20:21], s[6:7], s8, v22, 0
	v_addc_co_u32_e32 v7, vcc, v45, v7, vcc
	v_mov_b32_e32 v5, v21
	v_mov_b32_e32 v10, v19
	v_mad_u64_u32 v[21:22], s[6:7], s9, v22, v[5:6]
	v_add_co_u32_e32 v3, vcc, v31, v3
	v_lshlrev_b64 v[8:9], 3, v[9:10]
	v_addc_co_u32_e32 v4, vcc, v45, v4, vcc
	v_add_co_u32_e32 v8, vcc, v31, v8
	v_addc_co_u32_e32 v9, vcc, v45, v9, vcc
	v_lshlrev_b64 v[19:20], 3, v[20:21]
	global_load_dwordx2 v[21:22], v[1:2], off
	global_load_dwordx2 v[39:40], v[6:7], off
	;; [unrolled: 1-line block ×4, first 2 shown]
	v_add_co_u32_e32 v1, vcc, v31, v19
	v_addc_co_u32_e32 v2, vcc, v45, v20, vcc
	global_load_dwordx2 v[1:2], v[1:2], off
	v_mul_u32_u24_e32 v3, 0x680, v37
	v_add3_u32 v3, 0, v3, v38
	s_waitcnt vmcnt(11)
	ds_write2_b64 v3, v[11:12], v[13:14] offset1:16
	s_waitcnt vmcnt(9)
	ds_write2_b64 v3, v[15:16], v[17:18] offset0:32 offset1:48
	s_waitcnt vmcnt(7)
	ds_write2_b64 v3, v[23:24], v[25:26] offset0:64 offset1:80
	;; [unrolled: 2-line block ×5, first 2 shown]
	s_waitcnt vmcnt(0)
	ds_write_b64 v3, v[1:2] offset:1536
.LBB0_14:
	s_or_b64 exec, exec, s[4:5]
	s_add_u32 s4, 0, 0x71c4fc00
	s_addc_u32 s5, 0, 0x7c
	s_add_i32 s5, s5, 0x1c71c6a0
	s_mul_hi_u32 s17, s4, -9
	s_sub_i32 s17, s17, s4
	s_mul_i32 s18, s5, -9
	s_mul_i32 s6, s4, -9
	s_add_i32 s17, s17, s18
	s_mul_hi_u32 s7, s5, s6
	s_mul_i32 s16, s5, s6
	s_mul_i32 s19, s4, s17
	s_mul_hi_u32 s6, s4, s6
	s_mul_hi_u32 s18, s4, s17
	s_add_u32 s6, s6, s19
	s_addc_u32 s18, 0, s18
	s_add_u32 s6, s6, s16
	s_mul_hi_u32 s19, s5, s17
	s_addc_u32 s6, s18, s7
	v_lshrrev_b32_e32 v1, 4, v0
	s_addc_u32 s7, s19, 0
	s_mul_i32 s16, s5, s17
	v_mov_b32_e32 v2, s33
	v_add_co_u32_e32 v5, vcc, s36, v1
	s_add_u32 s6, s6, s16
	v_addc_co_u32_e32 v6, vcc, 0, v2, vcc
	v_mov_b32_e32 v1, s6
	s_addc_u32 s7, 0, s7
	v_add_co_u32_e32 v3, vcc, s4, v1
	s_cmp_lg_u64 vcc, 0
	s_addc_u32 s6, s5, s7
	v_mad_u64_u32 v[1:2], s[4:5], v5, s6, 0
	v_mul_hi_u32 v4, v5, v3
	v_and_b32_e32 v41, 15, v0
	s_waitcnt lgkmcnt(0)
	s_barrier
	v_add_co_u32_e32 v7, vcc, v4, v1
	v_addc_co_u32_e32 v8, vcc, 0, v2, vcc
	v_mad_u64_u32 v[1:2], s[4:5], v6, v3, 0
	v_mad_u64_u32 v[3:4], s[4:5], v6, s6, 0
	v_add_co_u32_e32 v1, vcc, v7, v1
	v_addc_co_u32_e32 v1, vcc, v8, v2, vcc
	v_addc_co_u32_e32 v2, vcc, 0, v4, vcc
	v_add_co_u32_e32 v1, vcc, v1, v3
	v_addc_co_u32_e32 v3, vcc, 0, v2, vcc
	v_mad_u64_u32 v[1:2], s[4:5], v1, 9, 0
	s_mov_b32 s16, 0x3f62ad3f
	v_mad_u64_u32 v[2:3], s[4:5], v3, 9, v[2:3]
	v_sub_co_u32_e32 v1, vcc, v5, v1
	v_subb_co_u32_e32 v2, vcc, v6, v2, vcc
	v_subrev_co_u32_e32 v3, vcc, 9, v1
	v_subbrev_co_u32_e32 v4, vcc, 0, v2, vcc
	v_cmp_lt_u32_e32 vcc, 8, v3
	v_cndmask_b32_e64 v5, 0, -1, vcc
	v_cmp_eq_u32_e32 vcc, 0, v4
	v_cndmask_b32_e32 v4, -1, v5, vcc
	v_add_u32_e32 v5, -9, v3
	v_cmp_ne_u32_e32 vcc, 0, v4
	v_cndmask_b32_e32 v3, v3, v5, vcc
	v_cmp_lt_u32_e32 vcc, 8, v1
	v_cndmask_b32_e64 v4, 0, -1, vcc
	v_cmp_eq_u32_e32 vcc, 0, v2
	v_cndmask_b32_e32 v2, -1, v4, vcc
	v_cmp_ne_u32_e32 vcc, 0, v2
	v_cndmask_b32_e32 v1, v1, v3, vcc
	v_mul_u32_u24_e32 v1, 0xd0, v1
	v_lshlrev_b32_e32 v0, 3, v1
	v_add_u32_e32 v26, 0, v0
	v_lshlrev_b32_e32 v1, 3, v41
	v_add_u32_e32 v40, v26, v1
	ds_read_b64 v[27:28], v40
	v_add3_u32 v39, 0, v1, v0
	ds_read2_b64 v[10:13], v39 offset0:16 offset1:32
	ds_read2_b64 v[14:17], v39 offset0:48 offset1:64
	;; [unrolled: 1-line block ×6, first 2 shown]
	s_mov_b32 s6, 0x3f116cb1
	s_mov_b32 s4, 0x3df6dbef
	s_waitcnt lgkmcnt(5)
	v_add_f32_e32 v8, v27, v10
	v_add_f32_e32 v9, v28, v11
	v_add_f32_e32 v8, v8, v12
	v_add_f32_e32 v9, v9, v13
	s_waitcnt lgkmcnt(4)
	v_add_f32_e32 v8, v8, v14
	v_add_f32_e32 v9, v9, v15
	v_add_f32_e32 v8, v8, v16
	v_add_f32_e32 v9, v9, v17
	;; [unrolled: 5-line block ×4, first 2 shown]
	s_waitcnt lgkmcnt(1)
	v_add_f32_e32 v8, v8, v18
	v_add_f32_e32 v9, v9, v19
	v_add_f32_e32 v8, v8, v20
	s_waitcnt lgkmcnt(0)
	v_add_f32_e32 v30, v25, v11
	v_add_f32_e32 v9, v9, v21
	v_add_f32_e32 v8, v8, v22
	v_sub_f32_e32 v11, v11, v25
	v_mul_f32_e32 v31, 0x3f62ad3f, v30
	v_mul_f32_e32 v45, 0x3f116cb1, v30
	;; [unrolled: 1-line block ×6, first 2 shown]
	v_add_f32_e32 v9, v9, v23
	v_add_f32_e32 v8, v8, v24
	v_add_f32_e32 v29, v24, v10
	v_sub_f32_e32 v10, v10, v24
	v_mul_f32_e32 v24, 0xbeedf032, v11
	v_mov_b32_e32 v42, v31
	v_mul_f32_e32 v43, 0xbf52af12, v11
	v_mov_b32_e32 v46, v45
	;; [unrolled: 2-line block ×6, first 2 shown]
	v_add_f32_e32 v9, v9, v25
	v_mov_b32_e32 v25, v24
	v_fmac_f32_e32 v42, 0x3eedf032, v10
	v_fmac_f32_e32 v31, 0xbeedf032, v10
	v_mov_b32_e32 v44, v43
	v_fmac_f32_e32 v46, 0x3f52af12, v10
	v_fmac_f32_e32 v45, 0xbf52af12, v10
	;; [unrolled: 3-line block ×3, first 2 shown]
	s_mov_b32 s5, 0xbeb58ec6
	v_mov_b32_e32 v52, v51
	v_fmac_f32_e32 v54, 0x3f6f5d39, v10
	v_fmac_f32_e32 v53, 0xbf6f5d39, v10
	s_mov_b32 s7, 0xbf3f9e67
	v_mov_b32_e32 v56, v55
	v_fmac_f32_e32 v58, 0x3f29c268, v10
	v_fmac_f32_e32 v57, 0xbf29c268, v10
	;; [unrolled: 4-line block ×3, first 2 shown]
	v_fmac_f32_e32 v25, 0x3f62ad3f, v29
	v_add_f32_e32 v42, v28, v42
	v_fma_f32 v24, v29, s16, -v24
	v_add_f32_e32 v31, v28, v31
	v_fmac_f32_e32 v44, 0x3f116cb1, v29
	v_add_f32_e32 v46, v28, v46
	v_fma_f32 v43, v29, s6, -v43
	v_add_f32_e32 v45, v28, v45
	;; [unrolled: 4-line block ×6, first 2 shown]
	v_add_f32_e32 v28, v23, v13
	v_sub_f32_e32 v13, v13, v23
	v_add_f32_e32 v25, v27, v25
	v_add_f32_e32 v24, v27, v24
	;; [unrolled: 1-line block ×13, first 2 shown]
	v_sub_f32_e32 v12, v12, v22
	v_mul_f32_e32 v22, 0xbf52af12, v13
	v_mov_b32_e32 v23, v22
	v_fmac_f32_e32 v23, 0x3f116cb1, v27
	v_add_f32_e32 v23, v23, v25
	v_mul_f32_e32 v25, 0x3f116cb1, v28
	v_mov_b32_e32 v29, v25
	v_fma_f32 v22, v27, s6, -v22
	v_fmac_f32_e32 v25, 0xbf52af12, v12
	v_add_f32_e32 v22, v22, v24
	v_add_f32_e32 v24, v25, v31
	v_mul_f32_e32 v25, 0xbf6f5d39, v13
	v_mov_b32_e32 v30, v25
	v_fma_f32 v25, v27, s5, -v25
	v_fmac_f32_e32 v29, 0x3f52af12, v12
	v_fmac_f32_e32 v30, 0xbeb58ec6, v27
	v_mul_f32_e32 v31, 0xbeb58ec6, v28
	v_add_f32_e32 v25, v25, v43
	v_mul_f32_e32 v43, 0xbe750f2a, v13
	v_add_f32_e32 v29, v29, v42
	v_add_f32_e32 v30, v30, v44
	v_mov_b32_e32 v42, v31
	v_fmac_f32_e32 v31, 0xbf6f5d39, v12
	v_mov_b32_e32 v44, v43
	v_fma_f32 v43, v27, s17, -v43
	v_fmac_f32_e32 v42, 0x3f6f5d39, v12
	v_add_f32_e32 v31, v31, v45
	v_fmac_f32_e32 v44, 0xbf788fa5, v27
	v_mul_f32_e32 v45, 0xbf788fa5, v28
	v_add_f32_e32 v43, v43, v47
	v_mul_f32_e32 v47, 0x3f29c268, v13
	v_add_f32_e32 v42, v42, v46
	v_add_f32_e32 v44, v44, v48
	v_mov_b32_e32 v46, v45
	v_fmac_f32_e32 v45, 0xbe750f2a, v12
	v_mov_b32_e32 v48, v47
	v_fma_f32 v47, v27, s7, -v47
	v_fmac_f32_e32 v46, 0x3e750f2a, v12
	v_add_f32_e32 v45, v45, v49
	v_fmac_f32_e32 v48, 0xbf3f9e67, v27
	v_mul_f32_e32 v49, 0xbf3f9e67, v28
	v_add_f32_e32 v47, v47, v51
	v_mul_f32_e32 v51, 0x3f7e222b, v13
	v_add_f32_e32 v46, v46, v50
	v_add_f32_e32 v48, v48, v52
	v_mov_b32_e32 v50, v49
	v_fmac_f32_e32 v49, 0x3f29c268, v12
	v_mov_b32_e32 v52, v51
	v_fma_f32 v51, v27, s4, -v51
	v_mul_f32_e32 v13, 0x3eedf032, v13
	v_fmac_f32_e32 v50, 0xbf29c268, v12
	v_add_f32_e32 v49, v49, v53
	v_fmac_f32_e32 v52, 0x3df6dbef, v27
	v_mul_f32_e32 v53, 0x3df6dbef, v28
	v_add_f32_e32 v51, v51, v55
	v_mov_b32_e32 v55, v13
	v_mul_f32_e32 v28, 0x3f62ad3f, v28
	v_fma_f32 v13, v27, s16, -v13
	v_add_f32_e32 v50, v50, v54
	v_add_f32_e32 v52, v52, v56
	v_mov_b32_e32 v54, v53
	v_mov_b32_e32 v56, v28
	v_add_f32_e32 v11, v13, v11
	v_add_f32_e32 v13, v21, v15
	v_sub_f32_e32 v15, v15, v21
	v_fmac_f32_e32 v54, 0xbf7e222b, v12
	v_fmac_f32_e32 v53, 0x3f7e222b, v12
	;; [unrolled: 1-line block ×4, first 2 shown]
	v_add_f32_e32 v12, v20, v14
	v_sub_f32_e32 v14, v14, v20
	v_mul_f32_e32 v20, 0xbf7e222b, v15
	v_mov_b32_e32 v21, v20
	v_fmac_f32_e32 v21, 0x3df6dbef, v12
	v_add_f32_e32 v21, v21, v23
	v_mul_f32_e32 v23, 0x3df6dbef, v13
	v_fmac_f32_e32 v55, 0x3f62ad3f, v27
	v_mov_b32_e32 v27, v23
	v_fma_f32 v20, v12, s4, -v20
	v_fmac_f32_e32 v23, 0xbf7e222b, v14
	v_add_f32_e32 v10, v28, v10
	v_fmac_f32_e32 v27, 0x3f7e222b, v14
	v_add_f32_e32 v20, v20, v22
	v_add_f32_e32 v22, v23, v24
	v_mul_f32_e32 v23, 0xbe750f2a, v15
	v_mul_f32_e32 v28, 0xbf788fa5, v13
	v_add_f32_e32 v27, v27, v29
	v_mov_b32_e32 v24, v23
	v_mov_b32_e32 v29, v28
	v_fma_f32 v23, v12, s17, -v23
	v_fmac_f32_e32 v28, 0xbe750f2a, v14
	v_fmac_f32_e32 v24, 0xbf788fa5, v12
	v_add_f32_e32 v23, v23, v25
	v_add_f32_e32 v25, v28, v31
	v_mul_f32_e32 v28, 0x3f6f5d39, v15
	v_add_f32_e32 v24, v24, v30
	v_mov_b32_e32 v30, v28
	v_fma_f32 v28, v12, s5, -v28
	v_fmac_f32_e32 v29, 0x3e750f2a, v14
	v_fmac_f32_e32 v30, 0xbeb58ec6, v12
	v_mul_f32_e32 v31, 0xbeb58ec6, v13
	v_add_f32_e32 v28, v28, v43
	v_mul_f32_e32 v43, 0x3eedf032, v15
	v_add_f32_e32 v29, v29, v42
	v_add_f32_e32 v30, v30, v44
	v_mov_b32_e32 v42, v31
	v_fmac_f32_e32 v31, 0x3f6f5d39, v14
	v_mov_b32_e32 v44, v43
	v_fma_f32 v43, v12, s16, -v43
	v_fmac_f32_e32 v42, 0xbf6f5d39, v14
	v_add_f32_e32 v31, v31, v45
	v_fmac_f32_e32 v44, 0x3f62ad3f, v12
	v_mul_f32_e32 v45, 0x3f62ad3f, v13
	v_add_f32_e32 v43, v43, v47
	v_mul_f32_e32 v47, 0xbf52af12, v15
	v_add_f32_e32 v42, v42, v46
	v_add_f32_e32 v44, v44, v48
	v_mov_b32_e32 v46, v45
	v_fmac_f32_e32 v45, 0x3eedf032, v14
	v_mov_b32_e32 v48, v47
	v_fma_f32 v47, v12, s6, -v47
	v_mul_f32_e32 v15, 0xbf29c268, v15
	v_fmac_f32_e32 v46, 0xbeedf032, v14
	v_add_f32_e32 v45, v45, v49
	v_fmac_f32_e32 v48, 0x3f116cb1, v12
	v_mul_f32_e32 v49, 0x3f116cb1, v13
	v_add_f32_e32 v47, v47, v51
	v_mov_b32_e32 v51, v15
	v_mul_f32_e32 v13, 0xbf3f9e67, v13
	v_add_f32_e32 v46, v46, v50
	v_add_f32_e32 v48, v48, v52
	v_mov_b32_e32 v50, v49
	v_fmac_f32_e32 v51, 0xbf3f9e67, v12
	v_mov_b32_e32 v52, v13
	v_fma_f32 v12, v12, s7, -v15
	v_sub_f32_e32 v15, v17, v19
	v_fmac_f32_e32 v50, 0x3f52af12, v14
	v_fmac_f32_e32 v49, 0xbf52af12, v14
	;; [unrolled: 1-line block ×3, first 2 shown]
	v_add_f32_e32 v11, v12, v11
	v_fmac_f32_e32 v13, 0xbf29c268, v14
	v_add_f32_e32 v12, v18, v16
	v_sub_f32_e32 v14, v16, v18
	v_mul_f32_e32 v16, 0xbf6f5d39, v15
	v_add_f32_e32 v10, v13, v10
	v_add_f32_e32 v13, v19, v17
	v_mov_b32_e32 v17, v16
	v_fma_f32 v16, v12, s5, -v16
	v_fmac_f32_e32 v17, 0xbeb58ec6, v12
	v_mul_f32_e32 v18, 0xbeb58ec6, v13
	v_add_f32_e32 v16, v16, v20
	v_mul_f32_e32 v20, 0x3f29c268, v15
	v_add_f32_e32 v17, v17, v21
	v_mov_b32_e32 v19, v18
	v_fmac_f32_e32 v18, 0xbf6f5d39, v14
	v_mov_b32_e32 v21, v20
	v_add_f32_e32 v18, v18, v22
	v_fmac_f32_e32 v21, 0xbf3f9e67, v12
	v_mul_f32_e32 v22, 0xbf3f9e67, v13
	v_fma_f32 v20, v12, s7, -v20
	v_add_f32_e32 v21, v21, v24
	v_mov_b32_e32 v24, v22
	v_add_f32_e32 v20, v20, v23
	v_fmac_f32_e32 v22, 0x3f29c268, v14
	v_mul_f32_e32 v23, 0x3eedf032, v15
	v_fmac_f32_e32 v19, 0x3f6f5d39, v14
	v_add_f32_e32 v22, v22, v25
	v_mov_b32_e32 v25, v23
	v_fma_f32 v23, v12, s16, -v23
	v_add_f32_e32 v19, v19, v27
	v_fmac_f32_e32 v24, 0xbf29c268, v14
	v_fmac_f32_e32 v25, 0x3f62ad3f, v12
	v_mul_f32_e32 v27, 0x3f62ad3f, v13
	v_add_f32_e32 v23, v23, v28
	v_mul_f32_e32 v28, 0xbf7e222b, v15
	v_add_f32_e32 v24, v24, v29
	v_add_f32_e32 v25, v25, v30
	v_mov_b32_e32 v29, v27
	v_fmac_f32_e32 v27, 0x3eedf032, v14
	v_mov_b32_e32 v30, v28
	v_fma_f32 v28, v12, s4, -v28
	v_fmac_f32_e32 v29, 0xbeedf032, v14
	v_add_f32_e32 v27, v27, v31
	v_fmac_f32_e32 v30, 0x3df6dbef, v12
	v_mul_f32_e32 v31, 0x3df6dbef, v13
	v_add_f32_e32 v28, v28, v43
	v_mul_f32_e32 v43, 0x3e750f2a, v15
	v_add_f32_e32 v29, v29, v42
	v_add_f32_e32 v30, v30, v44
	v_mov_b32_e32 v42, v31
	v_fmac_f32_e32 v31, 0xbf7e222b, v14
	v_mov_b32_e32 v44, v43
	v_add_f32_e32 v31, v31, v45
	v_fmac_f32_e32 v44, 0xbf788fa5, v12
	v_mul_f32_e32 v45, 0xbf788fa5, v13
	v_fma_f32 v43, v12, s17, -v43
	v_mul_f32_e32 v15, 0x3f52af12, v15
	v_mul_f32_e32 v13, 0x3f116cb1, v13
	v_add_f32_e32 v44, v44, v48
	v_add_f32_e32 v43, v43, v47
	v_mov_b32_e32 v47, v15
	v_mov_b32_e32 v48, v13
	v_fmac_f32_e32 v13, 0x3f52af12, v14
	v_fmac_f32_e32 v47, 0x3f116cb1, v12
	v_fma_f32 v12, v12, s6, -v15
	v_add_f32_e32 v10, v13, v10
	v_add_f32_e32 v13, v7, v1
	v_sub_f32_e32 v1, v1, v7
	v_add_f32_e32 v11, v12, v11
	v_add_f32_e32 v12, v6, v0
	v_sub_f32_e32 v0, v0, v6
	v_mul_f32_e32 v6, 0xbf29c268, v1
	v_fmac_f32_e32 v42, 0x3f7e222b, v14
	v_mov_b32_e32 v7, v6
	v_add_f32_e32 v42, v42, v46
	v_mov_b32_e32 v46, v45
	v_fmac_f32_e32 v7, 0xbf3f9e67, v12
	v_fmac_f32_e32 v46, 0xbe750f2a, v14
	;; [unrolled: 1-line block ×4, first 2 shown]
	v_add_f32_e32 v14, v7, v17
	v_mul_f32_e32 v7, 0xbf3f9e67, v13
	v_fma_f32 v6, v12, s7, -v6
	v_mov_b32_e32 v15, v7
	v_add_f32_e32 v16, v6, v16
	v_fmac_f32_e32 v7, 0xbf29c268, v0
	v_mul_f32_e32 v6, 0x3f7e222b, v1
	v_add_f32_e32 v17, v7, v18
	v_mov_b32_e32 v7, v6
	v_fmac_f32_e32 v7, 0x3df6dbef, v12
	v_fmac_f32_e32 v15, 0x3f29c268, v0
	v_add_f32_e32 v18, v7, v21
	v_mul_f32_e32 v7, 0x3df6dbef, v13
	v_fma_f32 v6, v12, s4, -v6
	v_add_f32_e32 v15, v15, v19
	v_mov_b32_e32 v19, v7
	v_add_f32_e32 v20, v6, v20
	v_fmac_f32_e32 v7, 0x3f7e222b, v0
	v_mul_f32_e32 v6, 0xbf52af12, v1
	v_add_f32_e32 v53, v53, v57
	v_add_f32_e32 v21, v7, v22
	v_mov_b32_e32 v7, v6
	v_add_f32_e32 v54, v54, v58
	v_add_f32_e32 v49, v49, v53
	v_fmac_f32_e32 v7, 0x3f116cb1, v12
	v_add_f32_e32 v50, v50, v54
	v_add_f32_e32 v45, v45, v49
	;; [unrolled: 1-line block ×3, first 2 shown]
	v_mul_f32_e32 v7, 0x3f116cb1, v13
	v_fma_f32 v6, v12, s6, -v6
	v_add_f32_e32 v46, v46, v50
	v_mov_b32_e32 v22, v7
	v_add_f32_e32 v50, v6, v23
	v_fmac_f32_e32 v7, 0xbf52af12, v0
	v_mul_f32_e32 v6, 0x3e750f2a, v1
	v_add_f32_e32 v27, v7, v27
	v_mov_b32_e32 v7, v6
	v_fmac_f32_e32 v7, 0xbf788fa5, v12
	v_fmac_f32_e32 v22, 0x3f52af12, v0
	v_add_f32_e32 v30, v7, v30
	v_mul_f32_e32 v7, 0xbf788fa5, v13
	v_fma_f32 v6, v12, s17, -v6
	v_add_f32_e32 v29, v22, v29
	v_mov_b32_e32 v22, v7
	v_add_f32_e32 v28, v6, v28
	v_fmac_f32_e32 v7, 0x3e750f2a, v0
	v_mul_f32_e32 v6, 0x3eedf032, v1
	v_add_f32_e32 v55, v55, v59
	v_add_f32_e32 v31, v7, v31
	v_mov_b32_e32 v7, v6
	v_fma_f32 v6, v12, s16, -v6
	v_mul_f32_e32 v1, 0xbf6f5d39, v1
	v_add_f32_e32 v51, v51, v55
	v_fmac_f32_e32 v7, 0x3f62ad3f, v12
	v_add_f32_e32 v43, v6, v43
	v_mov_b32_e32 v6, v1
	v_add_f32_e32 v47, v47, v51
	v_fmac_f32_e32 v19, 0xbf7e222b, v0
	v_fmac_f32_e32 v22, 0xbe750f2a, v0
	v_add_f32_e32 v44, v7, v44
	v_mul_f32_e32 v7, 0x3f62ad3f, v13
	v_fmac_f32_e32 v6, 0xbeb58ec6, v12
	v_add_f32_e32 v56, v56, v60
	v_add_f32_e32 v19, v19, v24
	;; [unrolled: 1-line block ×3, first 2 shown]
	v_mov_b32_e32 v22, v7
	v_fmac_f32_e32 v7, 0x3eedf032, v0
	v_add_f32_e32 v24, v6, v47
	v_mul_f32_e32 v6, 0xbeb58ec6, v13
	v_add_f32_e32 v52, v52, v56
	v_add_f32_e32 v45, v7, v45
	v_mov_b32_e32 v7, v6
	v_add_f32_e32 v48, v48, v52
	v_fmac_f32_e32 v7, 0x3f6f5d39, v0
	v_add_f32_e32 v25, v7, v48
	v_add_f32_e32 v48, v5, v3
	v_sub_f32_e32 v5, v3, v5
	v_fmac_f32_e32 v22, 0xbeedf032, v0
	v_fma_f32 v1, v12, s5, -v1
	v_fmac_f32_e32 v6, 0xbf6f5d39, v0
	v_mul_f32_e32 v0, 0xbe750f2a, v5
	v_add_f32_e32 v7, v1, v11
	v_add_f32_e32 v47, v4, v2
	v_mov_b32_e32 v1, v0
	v_fmac_f32_e32 v1, 0xbf788fa5, v47
	v_add_f32_e32 v14, v1, v14
	v_mul_f32_e32 v1, 0xbf788fa5, v48
	v_sub_f32_e32 v4, v2, v4
	v_mov_b32_e32 v2, v1
	v_fmac_f32_e32 v2, 0x3e750f2a, v4
	v_fma_f32 v0, v47, s17, -v0
	v_add_f32_e32 v15, v2, v15
	v_add_f32_e32 v2, v0, v16
	v_fmac_f32_e32 v1, 0xbe750f2a, v4
	v_mul_f32_e32 v0, 0x3eedf032, v5
	v_add_f32_e32 v3, v1, v17
	v_mov_b32_e32 v1, v0
	v_fmac_f32_e32 v1, 0x3f62ad3f, v47
	v_add_f32_e32 v46, v22, v46
	v_add_f32_e32 v22, v1, v18
	v_mul_f32_e32 v1, 0x3f62ad3f, v48
	v_add_f32_e32 v6, v6, v10
	v_mov_b32_e32 v10, v1
	v_fmac_f32_e32 v10, 0xbeedf032, v4
	v_add_f32_e32 v23, v10, v19
	v_fma_f32 v0, v47, s16, -v0
	v_mul_f32_e32 v10, 0xbf29c268, v5
	v_mul_f32_e32 v18, 0xbf6f5d39, v5
	v_add_f32_e32 v20, v0, v20
	v_mov_b32_e32 v0, v10
	v_fma_f32 v10, v47, s7, -v10
	v_mul_f32_e32 v16, 0x3f52af12, v5
	v_mov_b32_e32 v19, v18
	v_fmac_f32_e32 v1, 0x3eedf032, v4
	v_mul_f32_e32 v11, 0xbf3f9e67, v48
	v_add_f32_e32 v12, v10, v50
	v_mov_b32_e32 v10, v16
	v_fma_f32 v16, v47, s6, -v16
	v_fmac_f32_e32 v19, 0xbeb58ec6, v47
	v_add_f32_e32 v21, v1, v21
	v_mov_b32_e32 v1, v11
	v_fmac_f32_e32 v11, 0xbf29c268, v4
	v_add_f32_e32 v16, v16, v28
	v_add_f32_e32 v28, v19, v44
	v_mul_f32_e32 v19, 0xbeb58ec6, v48
	v_add_f32_e32 v13, v11, v27
	v_mov_b32_e32 v27, v19
	v_fmac_f32_e32 v1, 0x3f29c268, v4
	v_fmac_f32_e32 v27, 0x3f6f5d39, v4
	v_mul_f32_e32 v5, 0x3f7e222b, v5
	v_add_f32_e32 v1, v1, v29
	v_add_f32_e32 v29, v27, v46
	v_mov_b32_e32 v27, v5
	v_fmac_f32_e32 v10, 0x3f116cb1, v47
	v_fmac_f32_e32 v27, 0x3df6dbef, v47
	v_add_f32_e32 v10, v10, v30
	v_mul_f32_e32 v17, 0x3f116cb1, v48
	v_add_f32_e32 v30, v27, v24
	v_mul_f32_e32 v27, 0x3df6dbef, v48
	v_mov_b32_e32 v11, v17
	v_mov_b32_e32 v24, v27
	v_fmac_f32_e32 v0, 0xbf3f9e67, v47
	v_fmac_f32_e32 v11, 0xbf52af12, v4
	;; [unrolled: 1-line block ×3, first 2 shown]
	v_fma_f32 v18, v47, s5, -v18
	v_fmac_f32_e32 v19, 0xbf6f5d39, v4
	v_fmac_f32_e32 v24, 0xbf7e222b, v4
	v_fma_f32 v5, v47, s4, -v5
	v_fmac_f32_e32 v27, 0x3f7e222b, v4
	s_movk_i32 s4, 0x68
	v_add_f32_e32 v0, v0, v49
	v_add_f32_e32 v11, v11, v42
	v_add_f32_e32 v17, v17, v31
	v_add_f32_e32 v18, v18, v43
	v_add_f32_e32 v19, v19, v45
	v_add_f32_e32 v31, v24, v25
	v_add_f32_e32 v24, v5, v7
	v_add_f32_e32 v25, v27, v6
	v_mad_u32_u24 v4, v41, s4, v26
	v_cmp_gt_u32_e32 vcc, 13, v41
	s_barrier
	ds_write2_b64 v4, v[8:9], v[14:15] offset1:1
	ds_write2_b64 v4, v[22:23], v[0:1] offset0:2 offset1:3
	ds_write2_b64 v4, v[10:11], v[28:29] offset0:4 offset1:5
	;; [unrolled: 1-line block ×5, first 2 shown]
	ds_write_b64 v4, v[2:3] offset:96
	s_waitcnt lgkmcnt(0)
	s_barrier
	s_waitcnt lgkmcnt(0)
                                        ; kill: def $vgpr4 killed $sgpr0 killed $exec
                                        ; implicit-def: $vgpr5
                                        ; implicit-def: $vgpr27
	s_and_saveexec_b64 s[4:5], vcc
	s_cbranch_execz .LBB0_16
; %bb.15:
	ds_read2_b64 v[42:45], v39 offset0:13 offset1:26
	ds_read2_b64 v[46:49], v39 offset0:39 offset1:52
	;; [unrolled: 1-line block ×7, first 2 shown]
	ds_read_b64 v[8:9], v40
	ds_read_b64 v[26:27], v39 offset:1560
	s_waitcnt lgkmcnt(5)
	v_mov_b32_e32 v19, v13
	v_mov_b32_e32 v18, v12
	s_waitcnt lgkmcnt(4)
	v_mov_b32_e32 v17, v21
	v_mov_b32_e32 v16, v20
	;; [unrolled: 1-line block ×4, first 2 shown]
	s_waitcnt lgkmcnt(3)
	v_mov_b32_e32 v21, v1
	v_mov_b32_e32 v20, v0
	;; [unrolled: 1-line block ×12, first 2 shown]
.LBB0_16:
	s_or_b64 exec, exec, s[4:5]
	s_waitcnt lgkmcnt(0)
	s_barrier
	s_and_saveexec_b64 s[4:5], vcc
	s_cbranch_execz .LBB0_18
; %bb.17:
	v_add_u32_e32 v42, -13, v41
	v_cndmask_b32_e32 v41, v42, v41, vcc
	v_mul_i32_i24_e32 v41, 15, v41
	v_mov_b32_e32 v42, 0
	v_lshlrev_b64 v[41:42], 3, v[41:42]
	v_mov_b32_e32 v43, s15
	v_add_co_u32_e32 v49, vcc, s14, v41
	v_addc_co_u32_e32 v50, vcc, v43, v42, vcc
	global_load_dwordx4 v[41:44], v[49:50], off offset:96
	global_load_dwordx4 v[45:48], v[49:50], off offset:32
	s_waitcnt vmcnt(1)
	v_mul_f32_e32 v51, v7, v44
	v_mul_f32_e32 v44, v6, v44
	;; [unrolled: 1-line block ×4, first 2 shown]
	v_fmac_f32_e32 v51, v6, v43
	v_fma_f32 v53, v7, v43, -v44
	v_fmac_f32_e32 v52, v4, v41
	v_fma_f32 v54, v5, v41, -v42
	global_load_dwordx4 v[4:7], v[49:50], off
	global_load_dwordx4 v[41:44], v[49:50], off offset:80
	s_waitcnt vmcnt(2)
	v_mul_f32_e32 v55, v31, v48
	v_mul_f32_e32 v48, v30, v48
	v_fmac_f32_e32 v55, v30, v47
	v_fma_f32 v47, v31, v47, -v48
	v_mul_f32_e32 v56, v29, v46
	v_mul_f32_e32 v30, v28, v46
	v_fmac_f32_e32 v56, v28, v45
	v_fma_f32 v45, v29, v45, -v30
	global_load_dwordx4 v[28:31], v[49:50], off offset:48
	s_waitcnt vmcnt(2)
	v_mul_f32_e32 v48, v23, v7
	v_mul_f32_e32 v46, v22, v7
	v_fmac_f32_e32 v48, v22, v6
	v_mul_f32_e32 v57, v15, v5
	s_waitcnt vmcnt(1)
	v_mul_f32_e32 v22, v20, v42
	v_mul_f32_e32 v42, v21, v42
	v_mul_f32_e32 v7, v14, v5
	v_fmac_f32_e32 v57, v14, v4
	v_mul_f32_e32 v14, v3, v44
	v_fmac_f32_e32 v42, v20, v41
	v_mul_f32_e32 v20, v2, v44
	v_fma_f32 v46, v23, v6, -v46
	v_fma_f32 v15, v15, v4, -v7
	global_load_dwordx4 v[4:7], v[49:50], off offset:64
	v_fma_f32 v58, v21, v41, -v22
	v_fmac_f32_e32 v14, v2, v43
	v_fma_f32 v41, v3, v43, -v20
	global_load_dwordx4 v[20:23], v[49:50], off offset:16
	global_load_dwordx2 v[2:3], v[49:50], off offset:112
	s_waitcnt vmcnt(3)
	v_mul_f32_e32 v44, v18, v31
	s_waitcnt vmcnt(2)
	v_mul_f32_e32 v43, v12, v7
	;; [unrolled: 2-line block ×4, first 2 shown]
	v_mul_f32_e32 v3, v26, v3
	v_fmac_f32_e32 v50, v26, v2
	v_fma_f32 v2, v27, v2, -v3
	v_mul_f32_e32 v3, v13, v7
	v_fmac_f32_e32 v3, v12, v6
	v_mul_f32_e32 v12, v1, v21
	v_mul_f32_e32 v7, v0, v21
	;; [unrolled: 1-line block ×3, first 2 shown]
	v_fma_f32 v13, v13, v6, -v43
	v_mul_f32_e32 v5, v17, v5
	v_fmac_f32_e32 v12, v0, v20
	v_fma_f32 v0, v19, v30, -v44
	v_mul_f32_e32 v26, v25, v29
	v_mul_f32_e32 v6, v24, v29
	v_fma_f32 v7, v1, v20, -v7
	v_fma_f32 v1, v17, v4, -v27
	v_fmac_f32_e32 v5, v16, v4
	v_sub_f32_e32 v13, v46, v13
	v_sub_f32_e32 v4, v55, v51
	;; [unrolled: 1-line block ×4, first 2 shown]
	v_mul_f32_e32 v0, v10, v23
	v_fmac_f32_e32 v26, v24, v28
	v_fma_f32 v6, v25, v28, -v6
	v_fmac_f32_e32 v49, v10, v22
	v_sub_f32_e32 v25, v15, v1
	v_sub_f32_e32 v29, v13, v4
	v_fma_f32 v10, v11, v22, -v0
	v_sub_f32_e32 v11, v45, v54
	v_fma_f32 v48, v48, 2.0, -v20
	v_fma_f32 v4, v55, 2.0, -v4
	v_sub_f32_e32 v24, v26, v50
	v_sub_f32_e32 v42, v12, v42
	v_mul_f32_e32 v0, v19, v31
	v_sub_f32_e32 v55, v48, v4
	v_fma_f32 v60, v15, 2.0, -v25
	v_fma_f32 v4, v45, 2.0, -v11
	v_sub_f32_e32 v14, v49, v14
	v_sub_f32_e32 v21, v7, v58
	;; [unrolled: 1-line block ×3, first 2 shown]
	v_fmac_f32_e32 v0, v18, v30
	v_sub_f32_e32 v45, v60, v4
	v_fma_f32 v12, v12, 2.0, -v42
	v_fma_f32 v4, v26, 2.0, -v24
	v_sub_f32_e32 v27, v56, v52
	v_sub_f32_e32 v43, v16, v14
	;; [unrolled: 1-line block ×6, first 2 shown]
	v_fma_f32 v26, v7, 2.0, -v21
	v_fma_f32 v4, v6, 2.0, -v28
	v_sub_f32_e32 v17, v47, v53
	v_sub_f32_e32 v51, v25, v27
	v_mov_b32_e32 v52, v43
	v_add_f32_e32 v58, v42, v28
	v_add_f32_e32 v23, v22, v11
	;; [unrolled: 1-line block ×3, first 2 shown]
	v_sub_f32_e32 v28, v26, v4
	v_fma_f32 v57, v57, 2.0, -v22
	v_fma_f32 v4, v56, 2.0, -v27
	v_add_f32_e32 v44, v20, v17
	v_sub_f32_e32 v50, v21, v24
	v_mov_b32_e32 v53, v51
	v_fmac_f32_e32 v52, 0x3f3504f3, v29
	v_mov_b32_e32 v54, v23
	v_mov_b32_e32 v31, v30
	v_sub_f32_e32 v27, v57, v4
	v_fma_f32 v46, v46, 2.0, -v13
	v_fma_f32 v4, v47, 2.0, -v17
	;; [unrolled: 1-line block ×3, first 2 shown]
	v_fmac_f32_e32 v53, 0x3f3504f3, v50
	v_fmac_f32_e32 v52, 0xbf3504f3, v44
	;; [unrolled: 1-line block ×4, first 2 shown]
	v_fma_f32 v5, v10, 2.0, -v5
	v_sub_f32_e32 v17, v46, v4
	v_fma_f32 v47, v8, 2.0, -v18
	v_fma_f32 v4, v49, 2.0, -v14
	;; [unrolled: 1-line block ×5, first 2 shown]
	v_mov_b32_e32 v44, v25
	v_fma_f32 v13, v42, 2.0, -v58
	v_fma_f32 v42, v22, 2.0, -v23
	v_fmac_f32_e32 v53, 0xbf3504f3, v58
	v_fmac_f32_e32 v54, 0x3f3504f3, v50
	v_fma_f32 v19, v9, 2.0, -v16
	v_sub_f32_e32 v49, v47, v4
	v_fma_f32 v62, v16, 2.0, -v43
	v_fmac_f32_e32 v44, 0xbf3504f3, v11
	v_mov_b32_e32 v50, v42
	v_fma_f32 v16, v43, 2.0, -v52
	v_add_f32_e32 v61, v49, v17
	v_fmac_f32_e32 v44, 0xbf3504f3, v13
	v_fmac_f32_e32 v50, 0xbf3504f3, v13
	v_fma_f32 v58, v18, 2.0, -v30
	v_fma_f32 v13, v46, 2.0, -v17
	;; [unrolled: 1-line block ×3, first 2 shown]
	v_mov_b32_e32 v17, v16
	v_fmac_f32_e32 v31, 0x3f3504f3, v29
	v_fmac_f32_e32 v17, 0xbec3ef15, v18
	v_fma_f32 v20, v23, 2.0, -v54
	v_sub_f32_e32 v41, v19, v5
	v_fmac_f32_e32 v17, 0xbf6c835e, v20
	v_fma_f32 v21, v30, 2.0, -v31
	v_fma_f32 v64, v19, 2.0, -v41
	;; [unrolled: 1-line block ×3, first 2 shown]
	v_mov_b32_e32 v16, v21
	v_sub_f32_e32 v59, v41, v55
	v_fmac_f32_e32 v16, 0xbec3ef15, v20
	v_sub_f32_e32 v24, v45, v15
	v_add_f32_e32 v56, v27, v28
	v_mov_b32_e32 v4, v61
	v_fmac_f32_e32 v16, 0x3f6c835e, v18
	v_fma_f32 v20, v41, 2.0, -v59
	v_mov_b32_e32 v5, v59
	v_fmac_f32_e32 v4, 0x3f3504f3, v56
	v_fma_f32 v57, v57, 2.0, -v27
	v_fma_f32 v12, v12, 2.0, -v15
	;; [unrolled: 1-line block ×4, first 2 shown]
	v_mov_b32_e32 v21, v20
	v_fmac_f32_e32 v5, 0x3f3504f3, v24
	v_fmac_f32_e32 v4, 0x3f3504f3, v24
	v_mov_b32_e32 v29, v62
	v_sub_f32_e32 v65, v57, v12
	v_fma_f32 v47, v47, 2.0, -v49
	v_fma_f32 v12, v48, 2.0, -v55
	v_fmac_f32_e32 v21, 0xbf3504f3, v22
	v_fma_f32 v24, v27, 2.0, -v56
	v_fmac_f32_e32 v29, 0xbf3504f3, v8
	v_sub_f32_e32 v48, v47, v12
	v_fma_f32 v12, v26, 2.0, -v28
	v_fmac_f32_e32 v21, 0xbf3504f3, v24
	v_fma_f32 v26, v49, 2.0, -v61
	v_fmac_f32_e32 v29, 0xbf3504f3, v10
	v_fma_f32 v23, v20, 2.0, -v21
	v_mov_b32_e32 v20, v26
	v_mov_b32_e32 v9, v29
	v_fmac_f32_e32 v20, 0xbf3504f3, v24
	v_fmac_f32_e32 v9, 0x3ec3ef15, v44
	;; [unrolled: 1-line block ×3, first 2 shown]
	v_mov_b32_e32 v63, v58
	v_fmac_f32_e32 v20, 0x3f3504f3, v22
	v_fma_f32 v24, v62, 2.0, -v29
	v_fmac_f32_e32 v9, 0xbf6c835e, v50
	v_fmac_f32_e32 v63, 0xbf3504f3, v10
	v_fma_f32 v22, v26, 2.0, -v20
	v_fma_f32 v26, v25, 2.0, -v44
	v_mov_b32_e32 v25, v24
	v_fma_f32 v11, v29, 2.0, -v9
	v_fmac_f32_e32 v63, 0x3f3504f3, v8
	v_fmac_f32_e32 v25, 0xbf6c835e, v26
	v_fma_f32 v29, v42, 2.0, -v50
	v_fmac_f32_e32 v25, 0xbec3ef15, v29
	v_fma_f32 v30, v58, 2.0, -v63
	v_fma_f32 v27, v24, 2.0, -v25
	v_mov_b32_e32 v24, v30
	v_fma_f32 v55, v60, 2.0, -v45
	v_fmac_f32_e32 v24, 0xbf6c835e, v29
	v_mov_b32_e32 v0, v31
	v_sub_f32_e32 v46, v64, v13
	v_sub_f32_e32 v28, v55, v12
	v_fmac_f32_e32 v24, 0x3ec3ef15, v26
	v_fmac_f32_e32 v0, 0x3f6c835e, v54
	v_add_f32_e32 v12, v48, v28
	v_fma_f32 v26, v30, 2.0, -v24
	v_fma_f32 v30, v64, 2.0, -v46
	;; [unrolled: 1-line block ×3, first 2 shown]
	v_fmac_f32_e32 v0, 0x3ec3ef15, v53
	v_sub_f32_e32 v29, v30, v28
	v_mov_b32_e32 v1, v52
	v_fma_f32 v2, v31, 2.0, -v0
	v_mov_b32_e32 v8, v63
	v_fma_f32 v31, v30, 2.0, -v29
	v_fma_f32 v30, v47, 2.0, -v48
	;; [unrolled: 1-line block ×3, first 2 shown]
	v_fmac_f32_e32 v1, 0x3f6c835e, v53
	v_fmac_f32_e32 v8, 0x3ec3ef15, v50
	v_sub_f32_e32 v28, v30, v28
	v_fmac_f32_e32 v1, 0xbec3ef15, v54
	v_fmac_f32_e32 v5, 0xbf3504f3, v56
	;; [unrolled: 1-line block ×3, first 2 shown]
	v_sub_f32_e32 v13, v46, v65
	v_fma_f32 v30, v30, 2.0, -v28
	v_fma_f32 v3, v52, 2.0, -v1
	;; [unrolled: 1-line block ×7, first 2 shown]
	ds_write_b64 v40, v[30:31]
	ds_write2_b64 v39, v[26:27], v[22:23] offset0:13 offset1:26
	ds_write2_b64 v39, v[18:19], v[14:15] offset0:39 offset1:52
	;; [unrolled: 1-line block ×7, first 2 shown]
	ds_write_b64 v39, v[0:1] offset:1560
.LBB0_18:
	s_or_b64 exec, exec, s[4:5]
	s_waitcnt lgkmcnt(0)
	s_barrier
	s_and_saveexec_b64 s[4:5], s[0:1]
	s_cbranch_execz .LBB0_20
; %bb.19:
	v_mad_u64_u32 v[4:5], s[0:1], s10, v37, 0
	v_mad_u64_u32 v[6:7], s[0:1], s8, v32, 0
	v_mov_b32_e32 v0, v5
	v_mad_u64_u32 v[0:1], s[0:1], s11, v37, v[0:1]
	v_mov_b32_e32 v1, v7
	;; [unrolled: 2-line block ×3, first 2 shown]
	s_lshl_b64 s[0:1], s[2:3], 3
	v_mul_u32_u24_e32 v0, 0x680, v37
	s_add_u32 s0, s12, s0
	v_lshlrev_b64 v[4:5], 3, v[4:5]
	v_add3_u32 v8, 0, v0, v38
	s_addc_u32 s1, s13, s1
	v_mov_b32_e32 v7, v1
	ds_read2_b64 v[0:3], v8 offset1:16
	v_mov_b32_e32 v9, s1
	v_add_co_u32_e32 v10, vcc, s0, v4
	v_addc_co_u32_e32 v9, vcc, v9, v5, vcc
	v_lshlrev_b64 v[4:5], 3, v[6:7]
	v_mad_u64_u32 v[6:7], s[0:1], s8, v36, 0
	v_add_co_u32_e32 v4, vcc, v10, v4
	v_addc_co_u32_e32 v5, vcc, v9, v5, vcc
	s_waitcnt lgkmcnt(0)
	global_store_dwordx2 v[4:5], v[0:1], off
	v_mov_b32_e32 v0, v7
	v_mad_u64_u32 v[0:1], s[0:1], s9, v36, v[0:1]
	v_mad_u64_u32 v[4:5], s[0:1], s8, v35, 0
	v_mov_b32_e32 v7, v0
	v_lshlrev_b64 v[0:1], 3, v[6:7]
	v_mad_u64_u32 v[5:6], s[0:1], s9, v35, v[5:6]
	v_add_co_u32_e32 v0, vcc, v10, v0
	v_addc_co_u32_e32 v1, vcc, v9, v1, vcc
	global_store_dwordx2 v[0:1], v[2:3], off
	ds_read2_b64 v[0:3], v8 offset0:32 offset1:48
	v_lshlrev_b64 v[4:5], 3, v[4:5]
	v_mad_u64_u32 v[6:7], s[0:1], s8, v34, 0
	v_add_co_u32_e32 v4, vcc, v10, v4
	v_addc_co_u32_e32 v5, vcc, v9, v5, vcc
	s_waitcnt lgkmcnt(0)
	global_store_dwordx2 v[4:5], v[0:1], off
	v_mov_b32_e32 v0, v7
	v_mad_u64_u32 v[0:1], s[0:1], s9, v34, v[0:1]
	v_mad_u64_u32 v[4:5], s[0:1], s8, v33, 0
	v_mov_b32_e32 v7, v0
	v_lshlrev_b64 v[0:1], 3, v[6:7]
	v_mad_u64_u32 v[5:6], s[0:1], s9, v33, v[5:6]
	v_add_co_u32_e32 v0, vcc, v10, v0
	v_addc_co_u32_e32 v1, vcc, v9, v1, vcc
	global_store_dwordx2 v[0:1], v[2:3], off
	ds_read2_b64 v[0:3], v8 offset0:64 offset1:80
	v_add_u32_e32 v11, 0x50, v32
	v_lshlrev_b64 v[4:5], 3, v[4:5]
	v_mad_u64_u32 v[6:7], s[0:1], s8, v11, 0
	v_add_co_u32_e32 v4, vcc, v10, v4
	v_addc_co_u32_e32 v5, vcc, v9, v5, vcc
	s_waitcnt lgkmcnt(0)
	global_store_dwordx2 v[4:5], v[0:1], off
	v_mov_b32_e32 v0, v7
	v_mad_u64_u32 v[0:1], s[0:1], s9, v11, v[0:1]
	v_or_b32_e32 v11, 0x60, v32
	v_mad_u64_u32 v[4:5], s[0:1], s8, v11, 0
	v_mov_b32_e32 v7, v0
	v_lshlrev_b64 v[0:1], 3, v[6:7]
	v_mad_u64_u32 v[5:6], s[0:1], s9, v11, v[5:6]
	v_add_co_u32_e32 v0, vcc, v10, v0
	v_addc_co_u32_e32 v1, vcc, v9, v1, vcc
	global_store_dwordx2 v[0:1], v[2:3], off
	ds_read2_b64 v[0:3], v8 offset0:96 offset1:112
	v_add_u32_e32 v11, 0x70, v32
	v_lshlrev_b64 v[4:5], 3, v[4:5]
	v_mad_u64_u32 v[6:7], s[0:1], s8, v11, 0
	v_add_co_u32_e32 v4, vcc, v10, v4
	v_addc_co_u32_e32 v5, vcc, v9, v5, vcc
	s_waitcnt lgkmcnt(0)
	global_store_dwordx2 v[4:5], v[0:1], off
	v_mov_b32_e32 v0, v7
	v_mad_u64_u32 v[0:1], s[0:1], s9, v11, v[0:1]
	v_or_b32_e32 v11, 0x80, v32
	v_mad_u64_u32 v[4:5], s[0:1], s8, v11, 0
	v_mov_b32_e32 v7, v0
	v_lshlrev_b64 v[0:1], 3, v[6:7]
	v_mad_u64_u32 v[5:6], s[0:1], s9, v11, v[5:6]
	v_add_co_u32_e32 v0, vcc, v10, v0
	v_addc_co_u32_e32 v1, vcc, v9, v1, vcc
	global_store_dwordx2 v[0:1], v[2:3], off
	ds_read2_b64 v[0:3], v8 offset0:128 offset1:144
	v_add_u32_e32 v11, 0x90, v32
	v_lshlrev_b64 v[4:5], 3, v[4:5]
	v_mad_u64_u32 v[6:7], s[0:1], s8, v11, 0
	v_add_co_u32_e32 v4, vcc, v10, v4
	v_addc_co_u32_e32 v5, vcc, v9, v5, vcc
	s_waitcnt lgkmcnt(0)
	global_store_dwordx2 v[4:5], v[0:1], off
	v_mov_b32_e32 v0, v7
	v_mad_u64_u32 v[0:1], s[0:1], s9, v11, v[0:1]
	v_or_b32_e32 v11, 0xa0, v32
	v_mad_u64_u32 v[4:5], s[0:1], s8, v11, 0
	v_mov_b32_e32 v7, v0
	v_lshlrev_b64 v[0:1], 3, v[6:7]
	v_mad_u64_u32 v[5:6], s[0:1], s9, v11, v[5:6]
	v_add_co_u32_e32 v0, vcc, v10, v0
	v_addc_co_u32_e32 v1, vcc, v9, v1, vcc
	global_store_dwordx2 v[0:1], v[2:3], off
	ds_read2_b64 v[0:3], v8 offset0:160 offset1:176
	v_add_u32_e32 v11, 0xb0, v32
	v_lshlrev_b64 v[4:5], 3, v[4:5]
	v_mad_u64_u32 v[6:7], s[0:1], s8, v11, 0
	v_add_co_u32_e32 v4, vcc, v10, v4
	v_addc_co_u32_e32 v5, vcc, v9, v5, vcc
	s_waitcnt lgkmcnt(0)
	global_store_dwordx2 v[4:5], v[0:1], off
	v_mov_b32_e32 v0, v7
	v_mad_u64_u32 v[0:1], s[0:1], s9, v11, v[0:1]
	v_or_b32_e32 v11, 0xc0, v32
	v_mad_u64_u32 v[4:5], s[0:1], s8, v11, 0
	v_mov_b32_e32 v7, v0
	v_lshlrev_b64 v[0:1], 3, v[6:7]
	v_mad_u64_u32 v[5:6], s[0:1], s9, v11, v[5:6]
	v_add_co_u32_e32 v0, vcc, v10, v0
	v_addc_co_u32_e32 v1, vcc, v9, v1, vcc
	global_store_dwordx2 v[0:1], v[2:3], off
	ds_read_b64 v[0:1], v8 offset:1536
	v_lshlrev_b64 v[2:3], 3, v[4:5]
	v_add_co_u32_e32 v2, vcc, v10, v2
	v_addc_co_u32_e32 v3, vcc, v9, v3, vcc
	s_waitcnt lgkmcnt(0)
	global_store_dwordx2 v[2:3], v[0:1], off
.LBB0_20:
	s_endpgm
	.section	.rodata,"a",@progbits
	.p2align	6, 0x0
	.amdhsa_kernel fft_rtc_back_len208_factors_13_16_wgs_144_tpt_16_sp_ip_CI_sbcc
		.amdhsa_group_segment_fixed_size 0
		.amdhsa_private_segment_fixed_size 0
		.amdhsa_kernarg_size 96
		.amdhsa_user_sgpr_count 6
		.amdhsa_user_sgpr_private_segment_buffer 1
		.amdhsa_user_sgpr_dispatch_ptr 0
		.amdhsa_user_sgpr_queue_ptr 0
		.amdhsa_user_sgpr_kernarg_segment_ptr 1
		.amdhsa_user_sgpr_dispatch_id 0
		.amdhsa_user_sgpr_flat_scratch_init 0
		.amdhsa_user_sgpr_private_segment_size 0
		.amdhsa_uses_dynamic_stack 0
		.amdhsa_system_sgpr_private_segment_wavefront_offset 0
		.amdhsa_system_sgpr_workgroup_id_x 1
		.amdhsa_system_sgpr_workgroup_id_y 0
		.amdhsa_system_sgpr_workgroup_id_z 0
		.amdhsa_system_sgpr_workgroup_info 0
		.amdhsa_system_vgpr_workitem_id 0
		.amdhsa_next_free_vgpr 66
		.amdhsa_next_free_sgpr 43
		.amdhsa_reserve_vcc 1
		.amdhsa_reserve_flat_scratch 0
		.amdhsa_float_round_mode_32 0
		.amdhsa_float_round_mode_16_64 0
		.amdhsa_float_denorm_mode_32 3
		.amdhsa_float_denorm_mode_16_64 3
		.amdhsa_dx10_clamp 1
		.amdhsa_ieee_mode 1
		.amdhsa_fp16_overflow 0
		.amdhsa_exception_fp_ieee_invalid_op 0
		.amdhsa_exception_fp_denorm_src 0
		.amdhsa_exception_fp_ieee_div_zero 0
		.amdhsa_exception_fp_ieee_overflow 0
		.amdhsa_exception_fp_ieee_underflow 0
		.amdhsa_exception_fp_ieee_inexact 0
		.amdhsa_exception_int_div_zero 0
	.end_amdhsa_kernel
	.text
.Lfunc_end0:
	.size	fft_rtc_back_len208_factors_13_16_wgs_144_tpt_16_sp_ip_CI_sbcc, .Lfunc_end0-fft_rtc_back_len208_factors_13_16_wgs_144_tpt_16_sp_ip_CI_sbcc
                                        ; -- End function
	.section	.AMDGPU.csdata,"",@progbits
; Kernel info:
; codeLenInByte = 8360
; NumSgprs: 47
; NumVgprs: 66
; ScratchSize: 0
; MemoryBound: 0
; FloatMode: 240
; IeeeMode: 1
; LDSByteSize: 0 bytes/workgroup (compile time only)
; SGPRBlocks: 5
; VGPRBlocks: 16
; NumSGPRsForWavesPerEU: 47
; NumVGPRsForWavesPerEU: 66
; Occupancy: 3
; WaveLimiterHint : 1
; COMPUTE_PGM_RSRC2:SCRATCH_EN: 0
; COMPUTE_PGM_RSRC2:USER_SGPR: 6
; COMPUTE_PGM_RSRC2:TRAP_HANDLER: 0
; COMPUTE_PGM_RSRC2:TGID_X_EN: 1
; COMPUTE_PGM_RSRC2:TGID_Y_EN: 0
; COMPUTE_PGM_RSRC2:TGID_Z_EN: 0
; COMPUTE_PGM_RSRC2:TIDIG_COMP_CNT: 0
	.type	__hip_cuid_73e703d7b419ed10,@object ; @__hip_cuid_73e703d7b419ed10
	.section	.bss,"aw",@nobits
	.globl	__hip_cuid_73e703d7b419ed10
__hip_cuid_73e703d7b419ed10:
	.byte	0                               ; 0x0
	.size	__hip_cuid_73e703d7b419ed10, 1

	.ident	"AMD clang version 19.0.0git (https://github.com/RadeonOpenCompute/llvm-project roc-6.4.0 25133 c7fe45cf4b819c5991fe208aaa96edf142730f1d)"
	.section	".note.GNU-stack","",@progbits
	.addrsig
	.addrsig_sym __hip_cuid_73e703d7b419ed10
	.amdgpu_metadata
---
amdhsa.kernels:
  - .args:
      - .actual_access:  read_only
        .address_space:  global
        .offset:         0
        .size:           8
        .value_kind:     global_buffer
      - .address_space:  global
        .offset:         8
        .size:           8
        .value_kind:     global_buffer
      - .offset:         16
        .size:           8
        .value_kind:     by_value
      - .actual_access:  read_only
        .address_space:  global
        .offset:         24
        .size:           8
        .value_kind:     global_buffer
      - .actual_access:  read_only
        .address_space:  global
        .offset:         32
        .size:           8
        .value_kind:     global_buffer
      - .offset:         40
        .size:           8
        .value_kind:     by_value
      - .actual_access:  read_only
        .address_space:  global
        .offset:         48
        .size:           8
        .value_kind:     global_buffer
      - .actual_access:  read_only
        .address_space:  global
        .offset:         56
        .size:           8
        .value_kind:     global_buffer
      - .offset:         64
        .size:           4
        .value_kind:     by_value
      - .actual_access:  read_only
        .address_space:  global
        .offset:         72
        .size:           8
        .value_kind:     global_buffer
      - .actual_access:  read_only
        .address_space:  global
        .offset:         80
        .size:           8
        .value_kind:     global_buffer
      - .address_space:  global
        .offset:         88
        .size:           8
        .value_kind:     global_buffer
    .group_segment_fixed_size: 0
    .kernarg_segment_align: 8
    .kernarg_segment_size: 96
    .language:       OpenCL C
    .language_version:
      - 2
      - 0
    .max_flat_workgroup_size: 144
    .name:           fft_rtc_back_len208_factors_13_16_wgs_144_tpt_16_sp_ip_CI_sbcc
    .private_segment_fixed_size: 0
    .sgpr_count:     47
    .sgpr_spill_count: 0
    .symbol:         fft_rtc_back_len208_factors_13_16_wgs_144_tpt_16_sp_ip_CI_sbcc.kd
    .uniform_work_group_size: 1
    .uses_dynamic_stack: false
    .vgpr_count:     66
    .vgpr_spill_count: 0
    .wavefront_size: 64
amdhsa.target:   amdgcn-amd-amdhsa--gfx906
amdhsa.version:
  - 1
  - 2
...

	.end_amdgpu_metadata
